;; amdgpu-corpus repo=ROCm/rocFFT kind=compiled arch=gfx906 opt=O3
	.text
	.amdgcn_target "amdgcn-amd-amdhsa--gfx906"
	.amdhsa_code_object_version 6
	.protected	fft_rtc_back_len96_factors_6_16_wgs_128_tpt_16_dp_ip_CI_unitstride_sbrr_C2R_dirReg ; -- Begin function fft_rtc_back_len96_factors_6_16_wgs_128_tpt_16_dp_ip_CI_unitstride_sbrr_C2R_dirReg
	.globl	fft_rtc_back_len96_factors_6_16_wgs_128_tpt_16_dp_ip_CI_unitstride_sbrr_C2R_dirReg
	.p2align	8
	.type	fft_rtc_back_len96_factors_6_16_wgs_128_tpt_16_dp_ip_CI_unitstride_sbrr_C2R_dirReg,@function
fft_rtc_back_len96_factors_6_16_wgs_128_tpt_16_dp_ip_CI_unitstride_sbrr_C2R_dirReg: ; @fft_rtc_back_len96_factors_6_16_wgs_128_tpt_16_dp_ip_CI_unitstride_sbrr_C2R_dirReg
; %bb.0:
	s_load_dwordx2 s[2:3], s[4:5], 0x50
	s_load_dwordx4 s[8:11], s[4:5], 0x0
	s_load_dwordx2 s[12:13], s[4:5], 0x18
	v_lshrrev_b32_e32 v9, 4, v0
	v_mov_b32_e32 v3, 0
	v_mov_b32_e32 v1, 0
	s_waitcnt lgkmcnt(0)
	v_cmp_lt_u64_e64 s[0:1], s[10:11], 2
	v_lshl_or_b32 v5, s6, 3, v9
	v_mov_b32_e32 v6, v3
	s_and_b64 vcc, exec, s[0:1]
	v_mov_b32_e32 v2, 0
	s_cbranch_vccnz .LBB0_8
; %bb.1:
	s_load_dwordx2 s[0:1], s[4:5], 0x10
	s_add_u32 s6, s12, 8
	s_addc_u32 s7, s13, 0
	v_mov_b32_e32 v1, 0
	v_mov_b32_e32 v2, 0
	s_waitcnt lgkmcnt(0)
	s_add_u32 s14, s0, 8
	s_addc_u32 s15, s1, 0
	s_mov_b64 s[16:17], 1
.LBB0_2:                                ; =>This Inner Loop Header: Depth=1
	s_load_dwordx2 s[18:19], s[14:15], 0x0
                                        ; implicit-def: $vgpr7_vgpr8
	s_waitcnt lgkmcnt(0)
	v_or_b32_e32 v4, s19, v6
	v_cmp_ne_u64_e32 vcc, 0, v[3:4]
	s_and_saveexec_b64 s[0:1], vcc
	s_xor_b64 s[20:21], exec, s[0:1]
	s_cbranch_execz .LBB0_4
; %bb.3:                                ;   in Loop: Header=BB0_2 Depth=1
	v_cvt_f32_u32_e32 v4, s18
	v_cvt_f32_u32_e32 v7, s19
	s_sub_u32 s0, 0, s18
	s_subb_u32 s1, 0, s19
	v_mac_f32_e32 v4, 0x4f800000, v7
	v_rcp_f32_e32 v4, v4
	v_mul_f32_e32 v4, 0x5f7ffffc, v4
	v_mul_f32_e32 v7, 0x2f800000, v4
	v_trunc_f32_e32 v7, v7
	v_mac_f32_e32 v4, 0xcf800000, v7
	v_cvt_u32_f32_e32 v7, v7
	v_cvt_u32_f32_e32 v4, v4
	v_mul_lo_u32 v8, s0, v7
	v_mul_hi_u32 v10, s0, v4
	v_mul_lo_u32 v12, s1, v4
	v_mul_lo_u32 v11, s0, v4
	v_add_u32_e32 v8, v10, v8
	v_add_u32_e32 v8, v8, v12
	v_mul_hi_u32 v10, v4, v11
	v_mul_lo_u32 v12, v4, v8
	v_mul_hi_u32 v14, v4, v8
	v_mul_hi_u32 v13, v7, v11
	v_mul_lo_u32 v11, v7, v11
	v_mul_hi_u32 v15, v7, v8
	v_add_co_u32_e32 v10, vcc, v10, v12
	v_addc_co_u32_e32 v12, vcc, 0, v14, vcc
	v_mul_lo_u32 v8, v7, v8
	v_add_co_u32_e32 v10, vcc, v10, v11
	v_addc_co_u32_e32 v10, vcc, v12, v13, vcc
	v_addc_co_u32_e32 v11, vcc, 0, v15, vcc
	v_add_co_u32_e32 v8, vcc, v10, v8
	v_addc_co_u32_e32 v10, vcc, 0, v11, vcc
	v_add_co_u32_e32 v4, vcc, v4, v8
	v_addc_co_u32_e32 v7, vcc, v7, v10, vcc
	v_mul_lo_u32 v8, s0, v7
	v_mul_hi_u32 v10, s0, v4
	v_mul_lo_u32 v11, s1, v4
	v_mul_lo_u32 v12, s0, v4
	v_add_u32_e32 v8, v10, v8
	v_add_u32_e32 v8, v8, v11
	v_mul_lo_u32 v13, v4, v8
	v_mul_hi_u32 v14, v4, v12
	v_mul_hi_u32 v15, v4, v8
	;; [unrolled: 1-line block ×3, first 2 shown]
	v_mul_lo_u32 v12, v7, v12
	v_mul_hi_u32 v10, v7, v8
	v_add_co_u32_e32 v13, vcc, v14, v13
	v_addc_co_u32_e32 v14, vcc, 0, v15, vcc
	v_mul_lo_u32 v8, v7, v8
	v_add_co_u32_e32 v12, vcc, v13, v12
	v_addc_co_u32_e32 v11, vcc, v14, v11, vcc
	v_addc_co_u32_e32 v10, vcc, 0, v10, vcc
	v_add_co_u32_e32 v8, vcc, v11, v8
	v_addc_co_u32_e32 v10, vcc, 0, v10, vcc
	v_add_co_u32_e32 v4, vcc, v4, v8
	v_addc_co_u32_e32 v10, vcc, v7, v10, vcc
	v_mad_u64_u32 v[7:8], s[0:1], v5, v10, 0
	v_mul_hi_u32 v11, v5, v4
	v_add_co_u32_e32 v12, vcc, v11, v7
	v_addc_co_u32_e32 v13, vcc, 0, v8, vcc
	v_mad_u64_u32 v[7:8], s[0:1], v6, v4, 0
	v_mad_u64_u32 v[10:11], s[0:1], v6, v10, 0
	v_add_co_u32_e32 v4, vcc, v12, v7
	v_addc_co_u32_e32 v4, vcc, v13, v8, vcc
	v_addc_co_u32_e32 v7, vcc, 0, v11, vcc
	v_add_co_u32_e32 v4, vcc, v4, v10
	v_addc_co_u32_e32 v10, vcc, 0, v7, vcc
	v_mul_lo_u32 v11, s19, v4
	v_mul_lo_u32 v12, s18, v10
	v_mad_u64_u32 v[7:8], s[0:1], s18, v4, 0
	v_add3_u32 v8, v8, v12, v11
	v_sub_u32_e32 v11, v6, v8
	v_mov_b32_e32 v12, s19
	v_sub_co_u32_e32 v7, vcc, v5, v7
	v_subb_co_u32_e64 v11, s[0:1], v11, v12, vcc
	v_subrev_co_u32_e64 v12, s[0:1], s18, v7
	v_subbrev_co_u32_e64 v11, s[0:1], 0, v11, s[0:1]
	v_cmp_le_u32_e64 s[0:1], s19, v11
	v_cndmask_b32_e64 v13, 0, -1, s[0:1]
	v_cmp_le_u32_e64 s[0:1], s18, v12
	v_cndmask_b32_e64 v12, 0, -1, s[0:1]
	v_cmp_eq_u32_e64 s[0:1], s19, v11
	v_cndmask_b32_e64 v11, v13, v12, s[0:1]
	v_add_co_u32_e64 v12, s[0:1], 2, v4
	v_addc_co_u32_e64 v13, s[0:1], 0, v10, s[0:1]
	v_add_co_u32_e64 v14, s[0:1], 1, v4
	v_addc_co_u32_e64 v15, s[0:1], 0, v10, s[0:1]
	v_subb_co_u32_e32 v8, vcc, v6, v8, vcc
	v_cmp_ne_u32_e64 s[0:1], 0, v11
	v_cmp_le_u32_e32 vcc, s19, v8
	v_cndmask_b32_e64 v11, v15, v13, s[0:1]
	v_cndmask_b32_e64 v13, 0, -1, vcc
	v_cmp_le_u32_e32 vcc, s18, v7
	v_cndmask_b32_e64 v7, 0, -1, vcc
	v_cmp_eq_u32_e32 vcc, s19, v8
	v_cndmask_b32_e32 v7, v13, v7, vcc
	v_cmp_ne_u32_e32 vcc, 0, v7
	v_cndmask_b32_e64 v7, v14, v12, s[0:1]
	v_cndmask_b32_e32 v8, v10, v11, vcc
	v_cndmask_b32_e32 v7, v4, v7, vcc
.LBB0_4:                                ;   in Loop: Header=BB0_2 Depth=1
	s_andn2_saveexec_b64 s[0:1], s[20:21]
	s_cbranch_execz .LBB0_6
; %bb.5:                                ;   in Loop: Header=BB0_2 Depth=1
	v_cvt_f32_u32_e32 v4, s18
	s_sub_i32 s20, 0, s18
	v_rcp_iflag_f32_e32 v4, v4
	v_mul_f32_e32 v4, 0x4f7ffffe, v4
	v_cvt_u32_f32_e32 v4, v4
	v_mul_lo_u32 v7, s20, v4
	v_mul_hi_u32 v7, v4, v7
	v_add_u32_e32 v4, v4, v7
	v_mul_hi_u32 v4, v5, v4
	v_mul_lo_u32 v7, v4, s18
	v_add_u32_e32 v8, 1, v4
	v_sub_u32_e32 v7, v5, v7
	v_subrev_u32_e32 v10, s18, v7
	v_cmp_le_u32_e32 vcc, s18, v7
	v_cndmask_b32_e32 v7, v7, v10, vcc
	v_cndmask_b32_e32 v4, v4, v8, vcc
	v_add_u32_e32 v8, 1, v4
	v_cmp_le_u32_e32 vcc, s18, v7
	v_cndmask_b32_e32 v7, v4, v8, vcc
	v_mov_b32_e32 v8, v3
.LBB0_6:                                ;   in Loop: Header=BB0_2 Depth=1
	s_or_b64 exec, exec, s[0:1]
	v_mul_lo_u32 v4, v8, s18
	v_mul_lo_u32 v12, v7, s19
	v_mad_u64_u32 v[10:11], s[0:1], v7, s18, 0
	s_load_dwordx2 s[0:1], s[6:7], 0x0
	s_add_u32 s16, s16, 1
	v_add3_u32 v4, v11, v12, v4
	v_sub_co_u32_e32 v5, vcc, v5, v10
	v_subb_co_u32_e32 v4, vcc, v6, v4, vcc
	s_waitcnt lgkmcnt(0)
	v_mul_lo_u32 v4, s0, v4
	v_mul_lo_u32 v6, s1, v5
	v_mad_u64_u32 v[1:2], s[0:1], s0, v5, v[1:2]
	s_addc_u32 s17, s17, 0
	s_add_u32 s6, s6, 8
	v_add3_u32 v2, v6, v2, v4
	v_mov_b32_e32 v4, s10
	v_mov_b32_e32 v5, s11
	s_addc_u32 s7, s7, 0
	v_cmp_ge_u64_e32 vcc, s[16:17], v[4:5]
	s_add_u32 s14, s14, 8
	s_addc_u32 s15, s15, 0
	s_cbranch_vccnz .LBB0_9
; %bb.7:                                ;   in Loop: Header=BB0_2 Depth=1
	v_mov_b32_e32 v5, v7
	v_mov_b32_e32 v6, v8
	s_branch .LBB0_2
.LBB0_8:
	v_mov_b32_e32 v8, v6
	v_mov_b32_e32 v7, v5
.LBB0_9:
	s_lshl_b64 s[0:1], s[10:11], 3
	s_add_u32 s0, s12, s0
	s_addc_u32 s1, s13, s1
	s_load_dwordx2 s[6:7], s[0:1], 0x0
	s_load_dwordx2 s[10:11], s[4:5], 0x20
	v_and_b32_e32 v64, 15, v0
	s_waitcnt lgkmcnt(0)
	v_mul_lo_u32 v5, s6, v8
	v_mul_lo_u32 v6, s7, v7
	v_mad_u64_u32 v[3:4], s[0:1], s6, v7, v[1:2]
	v_mul_u32_u24_e32 v2, 0x61, v9
	v_cmp_gt_u64_e32 vcc, s[10:11], v[7:8]
	v_add3_u32 v4, v6, v4, v5
	v_lshlrev_b64 v[66:67], 4, v[3:4]
	v_lshlrev_b32_e32 v11, 4, v2
	s_and_saveexec_b64 s[4:5], vcc
	s_cbranch_execz .LBB0_13
; %bb.10:
	v_mov_b32_e32 v1, s3
	v_add_co_u32_e64 v0, s[0:1], s2, v66
	v_addc_co_u32_e64 v1, s[0:1], v1, v67, s[0:1]
	v_lshlrev_b32_e32 v3, 4, v64
	v_add_co_u32_e64 v8, s[0:1], v0, v3
	v_addc_co_u32_e64 v9, s[0:1], 0, v1, s[0:1]
	global_load_dwordx4 v[4:7], v[8:9], off
	global_load_dwordx4 v[12:15], v[8:9], off offset:256
	global_load_dwordx4 v[16:19], v[8:9], off offset:512
	;; [unrolled: 1-line block ×5, first 2 shown]
	v_add3_u32 v3, 0, v11, v3
	v_cmp_eq_u32_e64 s[0:1], 15, v64
	s_waitcnt vmcnt(5)
	ds_write_b128 v3, v[4:7]
	s_waitcnt vmcnt(4)
	ds_write_b128 v3, v[12:15] offset:256
	s_waitcnt vmcnt(3)
	ds_write_b128 v3, v[16:19] offset:512
	;; [unrolled: 2-line block ×5, first 2 shown]
	s_and_saveexec_b64 s[6:7], s[0:1]
	s_cbranch_execz .LBB0_12
; %bb.11:
	global_load_dwordx4 v[4:7], v[0:1], off offset:1536
	v_mov_b32_e32 v64, 15
	s_waitcnt vmcnt(0)
	ds_write_b128 v3, v[4:7] offset:1296
.LBB0_12:
	s_or_b64 exec, exec, s[6:7]
.LBB0_13:
	s_or_b64 exec, exec, s[4:5]
	v_lshl_add_u32 v68, v2, 4, 0
	v_lshlrev_b32_e32 v12, 4, v64
	v_add_u32_e32 v69, v68, v12
	s_waitcnt lgkmcnt(0)
	s_barrier
	v_sub_u32_e32 v10, v68, v12
	ds_read_b64 v[6:7], v69
	ds_read_b64 v[8:9], v10 offset:1536
	v_cmp_ne_u32_e64 s[0:1], 0, v64
                                        ; implicit-def: $vgpr4_vgpr5
	s_waitcnt lgkmcnt(0)
	v_add_f64 v[0:1], v[6:7], v[8:9]
	v_add_f64 v[2:3], v[6:7], -v[8:9]
	s_and_saveexec_b64 s[4:5], s[0:1]
	s_xor_b64 s[0:1], exec, s[4:5]
	s_cbranch_execz .LBB0_15
; %bb.14:
	global_load_dwordx4 v[2:5], v12, s[8:9] offset:1440
	ds_read_b64 v[0:1], v10 offset:1544
	ds_read_b64 v[13:14], v69 offset:8
	v_add_f64 v[15:16], v[6:7], v[8:9]
	v_add_f64 v[8:9], v[6:7], -v[8:9]
	v_mov_b32_e32 v65, 0
	s_waitcnt lgkmcnt(0)
	v_add_f64 v[17:18], v[0:1], v[13:14]
	v_add_f64 v[0:1], v[13:14], -v[0:1]
	s_waitcnt vmcnt(0)
	v_fma_f64 v[6:7], -v[8:9], v[4:5], v[15:16]
	v_fma_f64 v[13:14], v[17:18], v[4:5], -v[0:1]
	v_fma_f64 v[15:16], v[8:9], v[4:5], v[15:16]
	v_fma_f64 v[19:20], v[17:18], v[4:5], v[0:1]
	;; [unrolled: 1-line block ×4, first 2 shown]
	v_fma_f64 v[0:1], -v[17:18], v[2:3], v[15:16]
	v_fma_f64 v[2:3], v[8:9], v[2:3], v[19:20]
	ds_write_b128 v10, v[4:7] offset:1536
	v_mov_b32_e32 v4, v64
	v_mov_b32_e32 v5, v65
.LBB0_15:
	s_andn2_saveexec_b64 s[0:1], s[0:1]
	s_cbranch_execz .LBB0_17
; %bb.16:
	ds_read_b128 v[4:7], v68 offset:768
	s_waitcnt lgkmcnt(0)
	v_add_f64 v[13:14], v[4:5], v[4:5]
	v_mul_f64 v[15:16], v[6:7], -2.0
	v_mov_b32_e32 v4, 0
	v_mov_b32_e32 v5, 0
	ds_write_b128 v68, v[13:16] offset:768
.LBB0_17:
	s_or_b64 exec, exec, s[0:1]
	s_add_u32 s0, s8, 0x5a0
	v_lshlrev_b64 v[4:5], 4, v[4:5]
	s_addc_u32 s1, s9, 0
	v_mov_b32_e32 v6, s1
	v_add_co_u32_e64 v8, s[0:1], s0, v4
	v_addc_co_u32_e64 v9, s[0:1], v6, v5, s[0:1]
	global_load_dwordx4 v[4:7], v[8:9], off offset:256
	global_load_dwordx4 v[13:16], v[8:9], off offset:512
	ds_write_b128 v69, v[0:3]
	ds_read_b128 v[0:3], v69 offset:256
	ds_read_b128 v[17:20], v10 offset:1280
	v_add3_u32 v65, 0, v12, v11
	s_mov_b32 s0, 0xe8584caa
	s_mov_b32 s1, 0xbfebb67a
	;; [unrolled: 1-line block ×3, first 2 shown]
	s_waitcnt lgkmcnt(0)
	v_add_f64 v[8:9], v[0:1], v[17:18]
	v_add_f64 v[21:22], v[19:20], v[2:3]
	v_add_f64 v[17:18], v[0:1], -v[17:18]
	v_add_f64 v[0:1], v[2:3], -v[19:20]
	s_mov_b32 s4, s0
	s_movk_i32 s6, 0x50
	v_mad_u32_u24 v40, v64, s6, v65
                                        ; implicit-def: $vgpr58_vgpr59
                                        ; implicit-def: $vgpr50_vgpr51
                                        ; implicit-def: $vgpr42_vgpr43
                                        ; implicit-def: $vgpr46_vgpr47
                                        ; implicit-def: $vgpr62_vgpr63
                                        ; implicit-def: $vgpr54_vgpr55
	s_waitcnt vmcnt(1)
	v_fma_f64 v[2:3], v[17:18], v[6:7], v[8:9]
	v_fma_f64 v[19:20], v[21:22], v[6:7], v[0:1]
	v_fma_f64 v[8:9], -v[17:18], v[6:7], v[8:9]
	v_fma_f64 v[23:24], v[21:22], v[6:7], -v[0:1]
	v_fma_f64 v[0:1], -v[21:22], v[4:5], v[2:3]
	v_fma_f64 v[2:3], v[17:18], v[4:5], v[19:20]
	v_fma_f64 v[6:7], v[21:22], v[4:5], v[8:9]
	;; [unrolled: 1-line block ×3, first 2 shown]
	ds_write_b128 v69, v[0:3] offset:256
	ds_write_b128 v10, v[6:9] offset:1280
	ds_read_b128 v[0:3], v69 offset:512
	ds_read_b128 v[4:7], v10 offset:1024
	s_waitcnt lgkmcnt(0)
	v_add_f64 v[8:9], v[0:1], v[4:5]
	v_add_f64 v[17:18], v[6:7], v[2:3]
	v_add_f64 v[19:20], v[0:1], -v[4:5]
	v_add_f64 v[0:1], v[2:3], -v[6:7]
	s_waitcnt vmcnt(0)
	v_fma_f64 v[2:3], v[19:20], v[15:16], v[8:9]
	v_fma_f64 v[4:5], v[17:18], v[15:16], v[0:1]
	v_fma_f64 v[6:7], -v[19:20], v[15:16], v[8:9]
	v_fma_f64 v[8:9], v[17:18], v[15:16], -v[0:1]
	v_fma_f64 v[0:1], -v[17:18], v[13:14], v[2:3]
	v_fma_f64 v[2:3], v[19:20], v[13:14], v[4:5]
	v_fma_f64 v[4:5], v[17:18], v[13:14], v[6:7]
	;; [unrolled: 1-line block ×3, first 2 shown]
	ds_write_b128 v69, v[0:3] offset:512
	ds_write_b128 v10, v[4:7] offset:1024
	s_waitcnt lgkmcnt(0)
	s_barrier
	s_barrier
	ds_read_b128 v[0:3], v65 offset:512
	ds_read_b128 v[4:7], v65 offset:768
	;; [unrolled: 1-line block ×4, first 2 shown]
	ds_read_b128 v[16:19], v69
	ds_read_b128 v[20:23], v65 offset:256
	s_waitcnt lgkmcnt(0)
	v_add_f64 v[30:31], v[0:1], v[8:9]
	v_add_f64 v[24:25], v[6:7], v[14:15]
	;; [unrolled: 1-line block ×5, first 2 shown]
	v_add_f64 v[4:5], v[4:5], -v[12:13]
	v_add_f64 v[28:29], v[18:19], v[2:3]
	v_add_f64 v[32:33], v[2:3], -v[10:11]
	v_add_f64 v[2:3], v[2:3], v[10:11]
	v_fma_f64 v[24:25], v[24:25], -0.5, v[22:23]
	v_add_f64 v[22:23], v[22:23], v[6:7]
	v_add_f64 v[38:39], v[0:1], -v[8:9]
	v_add_f64 v[6:7], v[6:7], -v[14:15]
	v_add_f64 v[8:9], v[26:27], v[8:9]
	v_fma_f64 v[20:21], v[36:37], -0.5, v[20:21]
	v_fma_f64 v[16:17], v[30:31], -0.5, v[16:17]
	;; [unrolled: 1-line block ×3, first 2 shown]
	v_fma_f64 v[26:27], v[4:5], s[4:5], v[24:25]
	v_fma_f64 v[4:5], v[4:5], s[0:1], v[24:25]
	v_add_f64 v[14:15], v[22:23], v[14:15]
	v_add_f64 v[12:13], v[34:35], v[12:13]
	;; [unrolled: 1-line block ×3, first 2 shown]
	v_fma_f64 v[22:23], v[6:7], s[0:1], v[20:21]
	v_fma_f64 v[6:7], v[6:7], s[4:5], v[20:21]
	;; [unrolled: 1-line block ×3, first 2 shown]
	v_mul_f64 v[24:25], v[26:27], s[0:1]
	v_mul_f64 v[26:27], v[26:27], 0.5
	v_mul_f64 v[20:21], v[4:5], s[0:1]
	v_mul_f64 v[4:5], v[4:5], -0.5
	v_fma_f64 v[30:31], v[38:39], s[4:5], v[18:19]
	v_fma_f64 v[16:17], v[32:33], s[4:5], v[16:17]
	;; [unrolled: 1-line block ×3, first 2 shown]
	v_add_f64 v[0:1], v[8:9], v[12:13]
	v_fma_f64 v[24:25], v[22:23], 0.5, v[24:25]
	v_fma_f64 v[22:23], v[22:23], s[4:5], v[26:27]
	v_fma_f64 v[26:27], v[6:7], -0.5, v[20:21]
	v_fma_f64 v[32:33], v[6:7], s[4:5], v[4:5]
	v_add_f64 v[2:3], v[10:11], v[14:15]
	v_add_f64 v[12:13], v[8:9], -v[12:13]
	v_add_f64 v[14:15], v[10:11], -v[14:15]
	v_cmp_gt_u32_e64 s[0:1], 6, v64
	v_add_f64 v[4:5], v[28:29], v[24:25]
	v_add_f64 v[6:7], v[30:31], v[22:23]
	v_add_f64 v[8:9], v[28:29], -v[24:25]
	v_add_f64 v[10:11], v[30:31], -v[22:23]
	v_add_f64 v[20:21], v[16:17], v[26:27]
	v_add_f64 v[22:23], v[18:19], v[32:33]
	v_add_f64 v[16:17], v[16:17], -v[26:27]
	v_add_f64 v[18:19], v[18:19], -v[32:33]
	s_barrier
	ds_write_b128 v40, v[0:3]
	ds_write_b128 v40, v[12:15] offset:48
	ds_write_b128 v40, v[4:7] offset:16
	;; [unrolled: 1-line block ×5, first 2 shown]
	s_waitcnt lgkmcnt(0)
	s_barrier
	s_waitcnt lgkmcnt(0)
                                        ; implicit-def: $vgpr30_vgpr31
                                        ; implicit-def: $vgpr26_vgpr27
                                        ; implicit-def: $vgpr34_vgpr35
                                        ; implicit-def: $vgpr38_vgpr39
	s_and_saveexec_b64 s[4:5], s[0:1]
	s_cbranch_execz .LBB0_19
; %bb.18:
	ds_read_b128 v[0:3], v69
	ds_read_b128 v[4:7], v65 offset:96
	ds_read_b128 v[20:23], v65 offset:192
	ds_read_b128 v[12:15], v65 offset:288
	ds_read_b128 v[8:11], v65 offset:384
	ds_read_b128 v[16:19], v65 offset:480
	ds_read_b128 v[36:39], v65 offset:576
	ds_read_b128 v[28:31], v65 offset:672
	ds_read_b128 v[24:27], v65 offset:768
	ds_read_b128 v[32:35], v65 offset:864
	ds_read_b128 v[56:59], v65 offset:960
	ds_read_b128 v[48:51], v65 offset:1056
	ds_read_b128 v[40:43], v65 offset:1152
	ds_read_b128 v[44:47], v65 offset:1248
	ds_read_b128 v[60:63], v65 offset:1344
	ds_read_b128 v[52:55], v65 offset:1440
.LBB0_19:
	s_or_b64 exec, exec, s[4:5]
	s_waitcnt lgkmcnt(0)
	s_barrier
	s_and_saveexec_b64 s[4:5], s[0:1]
	s_cbranch_execz .LBB0_21
; %bb.20:
	v_mul_lo_u16_e32 v70, 43, v64
	v_mov_b32_e32 v71, 6
	v_mul_lo_u16_sdwa v70, v70, v71 dst_sel:DWORD dst_unused:UNUSED_PAD src0_sel:BYTE_1 src1_sel:DWORD
	v_sub_u16_e32 v70, v64, v70
	v_mul_lo_u16_e32 v70, 15, v70
	v_mov_b32_e32 v71, 4
	v_lshlrev_b32_sdwa v122, v71, v70 dst_sel:DWORD dst_unused:UNUSED_PAD src0_sel:DWORD src1_sel:BYTE_0
	global_load_dwordx4 v[70:73], v122, s[8:9] offset:16
	global_load_dwordx4 v[74:77], v122, s[8:9] offset:144
	;; [unrolled: 1-line block ×8, first 2 shown]
	global_load_dwordx4 v[102:105], v122, s[8:9]
	global_load_dwordx4 v[106:109], v122, s[8:9] offset:128
	global_load_dwordx4 v[110:113], v122, s[8:9] offset:64
	s_mov_b32 s0, 0x667f3bcd
	s_mov_b32 s1, 0x3fe6a09e
	;; [unrolled: 1-line block ×10, first 2 shown]
	s_waitcnt vmcnt(10)
	v_mul_f64 v[114:115], v[20:21], v[72:73]
	v_mul_f64 v[72:73], v[22:23], v[72:73]
	s_waitcnt vmcnt(9)
	v_mul_f64 v[116:117], v[56:57], v[76:77]
	v_mul_f64 v[76:77], v[58:59], v[76:77]
	v_fma_f64 v[114:115], v[22:23], v[70:71], -v[114:115]
	v_fma_f64 v[118:119], v[20:21], v[70:71], v[72:73]
	global_load_dwordx4 v[20:23], v122, s[8:9] offset:192
	global_load_dwordx4 v[70:73], v122, s[8:9] offset:48
	v_fma_f64 v[116:117], v[58:59], v[74:75], -v[116:117]
	v_fma_f64 v[120:121], v[56:57], v[74:75], v[76:77]
	global_load_dwordx4 v[56:59], v122, s[8:9] offset:176
	global_load_dwordx4 v[74:77], v122, s[8:9] offset:112
	s_waitcnt vmcnt(12)
	v_mul_f64 v[122:123], v[38:39], v[80:81]
	v_mul_f64 v[80:81], v[36:37], v[80:81]
	s_mov_b32 s9, 0xbfe6a09e
	s_mov_b32 s8, s0
	v_fma_f64 v[36:37], v[36:37], v[78:79], v[122:123]
	v_fma_f64 v[38:39], v[38:39], v[78:79], -v[80:81]
	s_waitcnt vmcnt(11)
	v_mul_f64 v[78:79], v[62:63], v[84:85]
	v_mul_f64 v[80:81], v[60:61], v[84:85]
	s_waitcnt vmcnt(10)
	v_mul_f64 v[84:85], v[12:13], v[88:89]
	v_mul_f64 v[88:89], v[14:15], v[88:89]
	v_fma_f64 v[60:61], v[60:61], v[82:83], v[78:79]
	v_fma_f64 v[62:63], v[62:63], v[82:83], -v[80:81]
	s_waitcnt vmcnt(9)
	v_mul_f64 v[78:79], v[48:49], v[92:93]
	v_mul_f64 v[80:81], v[50:51], v[92:93]
	s_waitcnt vmcnt(8)
	v_mul_f64 v[82:83], v[30:31], v[96:97]
	v_mul_f64 v[92:93], v[28:29], v[96:97]
	v_fma_f64 v[14:15], v[14:15], v[86:87], -v[84:85]
	v_fma_f64 v[12:13], v[12:13], v[86:87], v[88:89]
	s_waitcnt vmcnt(7)
	v_mul_f64 v[84:85], v[54:55], v[100:101]
	v_mul_f64 v[86:87], v[52:53], v[100:101]
	s_waitcnt vmcnt(6)
	v_mul_f64 v[88:89], v[4:5], v[104:105]
	v_mul_f64 v[96:97], v[6:7], v[104:105]
	v_fma_f64 v[50:51], v[50:51], v[90:91], -v[78:79]
	v_fma_f64 v[48:49], v[48:49], v[90:91], v[80:81]
	s_waitcnt vmcnt(5)
	v_mul_f64 v[78:79], v[32:33], v[108:109]
	v_mul_f64 v[80:81], v[34:35], v[108:109]
	s_waitcnt vmcnt(4)
	v_mul_f64 v[90:91], v[18:19], v[112:113]
	v_mul_f64 v[100:101], v[16:17], v[112:113]
	v_fma_f64 v[28:29], v[28:29], v[94:95], v[82:83]
	v_fma_f64 v[30:31], v[30:31], v[94:95], -v[92:93]
	v_fma_f64 v[52:53], v[52:53], v[98:99], v[84:85]
	v_fma_f64 v[54:55], v[54:55], v[98:99], -v[86:87]
	v_fma_f64 v[6:7], v[6:7], v[102:103], -v[88:89]
	v_fma_f64 v[4:5], v[4:5], v[102:103], v[96:97]
	v_fma_f64 v[34:35], v[34:35], v[106:107], -v[78:79]
	v_fma_f64 v[32:33], v[32:33], v[106:107], v[80:81]
	v_fma_f64 v[16:17], v[16:17], v[110:111], v[90:91]
	v_fma_f64 v[18:19], v[18:19], v[110:111], -v[100:101]
	v_add_f64 v[50:51], v[14:15], -v[50:51]
	v_add_f64 v[52:53], v[28:29], -v[52:53]
	;; [unrolled: 1-line block ×6, first 2 shown]
	v_fma_f64 v[14:15], v[14:15], 2.0, -v[50:51]
	v_fma_f64 v[28:29], v[28:29], 2.0, -v[52:53]
	v_add_f64 v[52:53], v[50:51], -v[52:53]
	v_fma_f64 v[30:31], v[30:31], 2.0, -v[54:55]
	v_add_f64 v[54:55], v[48:49], v[54:55]
	v_fma_f64 v[12:13], v[12:13], 2.0, -v[48:49]
	v_fma_f64 v[50:51], v[50:51], 2.0, -v[52:53]
	v_add_f64 v[30:31], v[14:15], -v[30:31]
	v_fma_f64 v[48:49], v[48:49], 2.0, -v[54:55]
	v_add_f64 v[28:29], v[12:13], -v[28:29]
	v_fma_f64 v[14:15], v[14:15], 2.0, -v[30:31]
	s_waitcnt vmcnt(3)
	v_mul_f64 v[82:83], v[46:47], v[22:23]
	v_mul_f64 v[22:23], v[44:45], v[22:23]
	s_waitcnt vmcnt(2)
	v_mul_f64 v[92:93], v[10:11], v[72:73]
	v_mul_f64 v[72:73], v[8:9], v[72:73]
	;; [unrolled: 3-line block ×4, first 2 shown]
	v_fma_f64 v[44:45], v[44:45], v[20:21], v[82:83]
	v_fma_f64 v[20:21], v[46:47], v[20:21], -v[22:23]
	v_fma_f64 v[8:9], v[8:9], v[70:71], v[92:93]
	v_fma_f64 v[10:11], v[10:11], v[70:71], -v[72:73]
	;; [unrolled: 2-line block ×3, first 2 shown]
	v_fma_f64 v[26:27], v[26:27], v[74:75], -v[86:87]
	v_fma_f64 v[24:25], v[24:25], v[74:75], v[76:77]
	v_add_f64 v[42:43], v[114:115], -v[116:117]
	v_add_f64 v[46:47], v[36:37], -v[60:61]
	;; [unrolled: 1-line block ×11, first 2 shown]
	v_fma_f64 v[36:37], v[36:37], 2.0, -v[46:47]
	v_add_f64 v[46:47], v[56:57], v[58:59]
	v_add_f64 v[74:75], v[34:35], -v[44:45]
	v_add_f64 v[62:63], v[26:27], -v[40:41]
	v_fma_f64 v[10:11], v[10:11], 2.0, -v[22:23]
	v_add_f64 v[22:23], v[24:25], v[22:23]
	v_add_f64 v[70:71], v[32:33], v[20:21]
	v_fma_f64 v[38:39], v[38:39], 2.0, -v[58:59]
	v_fma_f64 v[58:59], v[2:3], 2.0, -v[26:27]
	v_fma_f64 v[72:73], v[0:1], 2.0, -v[24:25]
	v_fma_f64 v[0:1], v[18:19], 2.0, -v[20:21]
	v_fma_f64 v[2:3], v[16:17], 2.0, -v[44:45]
	v_fma_f64 v[44:45], v[60:61], s[0:1], v[62:63]
	v_fma_f64 v[16:17], v[46:47], s[0:1], v[22:23]
	;; [unrolled: 1-line block ×4, first 2 shown]
	v_fma_f64 v[20:21], v[114:115], 2.0, -v[42:43]
	v_fma_f64 v[42:43], v[42:43], 2.0, -v[60:61]
	;; [unrolled: 1-line block ×6, first 2 shown]
	v_fma_f64 v[78:79], v[60:61], s[0:1], v[16:17]
	v_fma_f64 v[16:17], v[52:53], s[0:1], v[18:19]
	;; [unrolled: 1-line block ×4, first 2 shown]
	v_fma_f64 v[46:47], v[56:57], 2.0, -v[46:47]
	v_fma_f64 v[54:55], v[4:5], 2.0, -v[32:33]
	;; [unrolled: 1-line block ×5, first 2 shown]
	v_add_f64 v[60:61], v[40:41], -v[0:1]
	v_fma_f64 v[0:1], v[50:51], s[8:9], v[34:35]
	v_fma_f64 v[4:5], v[42:43], s[8:9], v[26:27]
	v_add_f64 v[38:39], v[20:21], -v[38:39]
	v_add_f64 v[76:77], v[54:55], -v[2:3]
	;; [unrolled: 1-line block ×3, first 2 shown]
	v_fma_f64 v[2:3], v[48:49], s[8:9], v[32:33]
	v_fma_f64 v[6:7], v[46:47], s[8:9], v[24:25]
	v_add_f64 v[56:57], v[58:59], -v[10:11]
	v_add_f64 v[36:37], v[52:53], -v[36:37]
	v_fma_f64 v[48:49], v[48:49], s[8:9], v[0:1]
	v_fma_f64 v[90:91], v[46:47], s[8:9], v[4:5]
	;; [unrolled: 1-line block ×4, first 2 shown]
	v_add_f64 v[86:87], v[76:77], v[30:31]
	v_add_f64 v[88:89], v[80:81], v[38:39]
	v_fma_f64 v[50:51], v[50:51], s[0:1], v[2:3]
	v_fma_f64 v[92:93], v[42:43], s[0:1], v[6:7]
	v_add_f64 v[82:83], v[56:57], -v[36:37]
	v_add_f64 v[84:85], v[60:61], -v[28:29]
	v_fma_f64 v[10:11], v[48:49], s[12:13], v[90:91]
	v_fma_f64 v[2:3], v[16:17], s[10:11], v[0:1]
	v_fma_f64 v[0:1], v[18:19], s[12:13], v[4:5]
	v_fma_f64 v[20:21], v[20:21], 2.0, -v[38:39]
	v_fma_f64 v[12:13], v[12:13], 2.0, -v[28:29]
	;; [unrolled: 1-line block ×8, first 2 shown]
	v_fma_f64 v[8:9], v[86:87], s[0:1], v[88:89]
	v_fma_f64 v[42:43], v[50:51], s[12:13], v[92:93]
	;; [unrolled: 1-line block ×3, first 2 shown]
	v_fma_f64 v[36:37], v[60:61], 2.0, -v[84:85]
	v_fma_f64 v[46:47], v[56:57], 2.0, -v[82:83]
	;; [unrolled: 1-line block ×3, first 2 shown]
	v_add_f64 v[54:55], v[38:39], -v[20:21]
	v_fma_f64 v[20:21], v[32:33], 2.0, -v[50:51]
	v_fma_f64 v[50:51], v[70:71], 2.0, -v[16:17]
	;; [unrolled: 1-line block ×3, first 2 shown]
	v_add_f64 v[60:61], v[30:31], -v[14:15]
	v_add_f64 v[28:29], v[18:19], -v[28:29]
	;; [unrolled: 1-line block ×3, first 2 shown]
	v_fma_f64 v[4:5], v[84:85], s[0:1], v[8:9]
	v_fma_f64 v[8:9], v[48:49], s[6:7], v[42:43]
	v_fma_f64 v[42:43], v[76:77], 2.0, -v[86:87]
	v_fma_f64 v[48:49], v[80:81], 2.0, -v[88:89]
	;; [unrolled: 1-line block ×5, first 2 shown]
	v_fma_f64 v[22:23], v[34:35], s[14:15], v[56:57]
	v_fma_f64 v[74:75], v[38:39], 2.0, -v[54:55]
	v_fma_f64 v[26:27], v[30:31], 2.0, -v[60:61]
	;; [unrolled: 1-line block ×4, first 2 shown]
	v_fma_f64 v[16:17], v[42:43], s[8:9], v[48:49]
	v_fma_f64 v[24:25], v[20:21], s[14:15], v[58:59]
	v_fma_f64 v[32:33], v[36:37], s[8:9], v[46:47]
	v_fma_f64 v[38:39], v[52:53], s[10:11], v[62:63]
	v_fma_f64 v[40:41], v[50:51], s[10:11], v[72:73]
	v_fma_f64 v[6:7], v[84:85], s[0:1], v[82:83]
	v_fma_f64 v[18:19], v[20:21], s[10:11], v[22:23]
	v_add_f64 v[22:23], v[74:75], -v[26:27]
	v_add_f64 v[20:21], v[76:77], -v[30:31]
	v_fma_f64 v[12:13], v[36:37], s[0:1], v[16:17]
	v_fma_f64 v[16:17], v[34:35], s[12:13], v[24:25]
	;; [unrolled: 1-line block ×5, first 2 shown]
	v_add_f64 v[34:35], v[54:55], -v[70:71]
	v_add_f64 v[32:33], v[28:29], v[60:61]
	v_fma_f64 v[6:7], v[86:87], s[8:9], v[6:7]
	v_fma_f64 v[42:43], v[74:75], 2.0, -v[22:23]
	v_fma_f64 v[40:41], v[76:77], 2.0, -v[20:21]
	;; [unrolled: 1-line block ×16, first 2 shown]
	ds_write_b128 v69, v[40:43]
	ds_write_b128 v65, v[36:39] offset:96
	ds_write_b128 v65, v[44:47] offset:192
	;; [unrolled: 1-line block ×15, first 2 shown]
.LBB0_21:
	s_or_b64 exec, exec, s[4:5]
	s_waitcnt lgkmcnt(0)
	s_barrier
	s_and_saveexec_b64 s[0:1], vcc
	s_cbranch_execz .LBB0_23
; %bb.22:
	v_lshl_add_u32 v10, v64, 4, v68
	v_mov_b32_e32 v65, 0
	ds_read_b128 v[0:3], v10
	v_mov_b32_e32 v4, s3
	v_add_co_u32_e32 v11, vcc, s2, v66
	v_addc_co_u32_e32 v12, vcc, v4, v67, vcc
	v_lshlrev_b64 v[4:5], 4, v[64:65]
	v_add_co_u32_e32 v8, vcc, v11, v4
	v_addc_co_u32_e32 v9, vcc, v12, v5, vcc
	ds_read_b128 v[4:7], v10 offset:256
	s_waitcnt lgkmcnt(1)
	global_store_dwordx4 v[8:9], v[0:3], off
	s_nop 0
	v_add_u32_e32 v0, 16, v64
	v_mov_b32_e32 v1, v65
	v_lshlrev_b64 v[0:1], 4, v[0:1]
	v_add_co_u32_e32 v0, vcc, v11, v0
	v_addc_co_u32_e32 v1, vcc, v12, v1, vcc
	s_waitcnt lgkmcnt(0)
	global_store_dwordx4 v[0:1], v[4:7], off
	ds_read_b128 v[0:3], v10 offset:512
	v_add_u32_e32 v4, 32, v64
	v_mov_b32_e32 v5, v65
	v_lshlrev_b64 v[4:5], 4, v[4:5]
	v_add_co_u32_e32 v8, vcc, v11, v4
	v_addc_co_u32_e32 v9, vcc, v12, v5, vcc
	ds_read_b128 v[4:7], v10 offset:768
	s_waitcnt lgkmcnt(1)
	global_store_dwordx4 v[8:9], v[0:3], off
	s_nop 0
	v_add_u32_e32 v0, 48, v64
	v_mov_b32_e32 v1, v65
	v_lshlrev_b64 v[0:1], 4, v[0:1]
	v_add_co_u32_e32 v0, vcc, v11, v0
	v_addc_co_u32_e32 v1, vcc, v12, v1, vcc
	s_waitcnt lgkmcnt(0)
	global_store_dwordx4 v[0:1], v[4:7], off
	ds_read_b128 v[0:3], v10 offset:1024
	v_add_u32_e32 v4, 64, v64
	v_mov_b32_e32 v5, v65
	v_lshlrev_b64 v[4:5], 4, v[4:5]
	v_add_u32_e32 v64, 0x50, v64
	v_add_co_u32_e32 v8, vcc, v11, v4
	v_addc_co_u32_e32 v9, vcc, v12, v5, vcc
	ds_read_b128 v[4:7], v10 offset:1280
	s_waitcnt lgkmcnt(1)
	global_store_dwordx4 v[8:9], v[0:3], off
	s_nop 0
	v_lshlrev_b64 v[0:1], 4, v[64:65]
	v_add_co_u32_e32 v0, vcc, v11, v0
	v_addc_co_u32_e32 v1, vcc, v12, v1, vcc
	s_waitcnt lgkmcnt(0)
	global_store_dwordx4 v[0:1], v[4:7], off
.LBB0_23:
	s_endpgm
	.section	.rodata,"a",@progbits
	.p2align	6, 0x0
	.amdhsa_kernel fft_rtc_back_len96_factors_6_16_wgs_128_tpt_16_dp_ip_CI_unitstride_sbrr_C2R_dirReg
		.amdhsa_group_segment_fixed_size 0
		.amdhsa_private_segment_fixed_size 0
		.amdhsa_kernarg_size 88
		.amdhsa_user_sgpr_count 6
		.amdhsa_user_sgpr_private_segment_buffer 1
		.amdhsa_user_sgpr_dispatch_ptr 0
		.amdhsa_user_sgpr_queue_ptr 0
		.amdhsa_user_sgpr_kernarg_segment_ptr 1
		.amdhsa_user_sgpr_dispatch_id 0
		.amdhsa_user_sgpr_flat_scratch_init 0
		.amdhsa_user_sgpr_private_segment_size 0
		.amdhsa_uses_dynamic_stack 0
		.amdhsa_system_sgpr_private_segment_wavefront_offset 0
		.amdhsa_system_sgpr_workgroup_id_x 1
		.amdhsa_system_sgpr_workgroup_id_y 0
		.amdhsa_system_sgpr_workgroup_id_z 0
		.amdhsa_system_sgpr_workgroup_info 0
		.amdhsa_system_vgpr_workitem_id 0
		.amdhsa_next_free_vgpr 124
		.amdhsa_next_free_sgpr 22
		.amdhsa_reserve_vcc 1
		.amdhsa_reserve_flat_scratch 0
		.amdhsa_float_round_mode_32 0
		.amdhsa_float_round_mode_16_64 0
		.amdhsa_float_denorm_mode_32 3
		.amdhsa_float_denorm_mode_16_64 3
		.amdhsa_dx10_clamp 1
		.amdhsa_ieee_mode 1
		.amdhsa_fp16_overflow 0
		.amdhsa_exception_fp_ieee_invalid_op 0
		.amdhsa_exception_fp_denorm_src 0
		.amdhsa_exception_fp_ieee_div_zero 0
		.amdhsa_exception_fp_ieee_overflow 0
		.amdhsa_exception_fp_ieee_underflow 0
		.amdhsa_exception_fp_ieee_inexact 0
		.amdhsa_exception_int_div_zero 0
	.end_amdhsa_kernel
	.text
.Lfunc_end0:
	.size	fft_rtc_back_len96_factors_6_16_wgs_128_tpt_16_dp_ip_CI_unitstride_sbrr_C2R_dirReg, .Lfunc_end0-fft_rtc_back_len96_factors_6_16_wgs_128_tpt_16_dp_ip_CI_unitstride_sbrr_C2R_dirReg
                                        ; -- End function
	.section	.AMDGPU.csdata,"",@progbits
; Kernel info:
; codeLenInByte = 5080
; NumSgprs: 26
; NumVgprs: 124
; ScratchSize: 0
; MemoryBound: 0
; FloatMode: 240
; IeeeMode: 1
; LDSByteSize: 0 bytes/workgroup (compile time only)
; SGPRBlocks: 3
; VGPRBlocks: 30
; NumSGPRsForWavesPerEU: 26
; NumVGPRsForWavesPerEU: 124
; Occupancy: 2
; WaveLimiterHint : 1
; COMPUTE_PGM_RSRC2:SCRATCH_EN: 0
; COMPUTE_PGM_RSRC2:USER_SGPR: 6
; COMPUTE_PGM_RSRC2:TRAP_HANDLER: 0
; COMPUTE_PGM_RSRC2:TGID_X_EN: 1
; COMPUTE_PGM_RSRC2:TGID_Y_EN: 0
; COMPUTE_PGM_RSRC2:TGID_Z_EN: 0
; COMPUTE_PGM_RSRC2:TIDIG_COMP_CNT: 0
	.type	__hip_cuid_1e3595c6c21eeaf5,@object ; @__hip_cuid_1e3595c6c21eeaf5
	.section	.bss,"aw",@nobits
	.globl	__hip_cuid_1e3595c6c21eeaf5
__hip_cuid_1e3595c6c21eeaf5:
	.byte	0                               ; 0x0
	.size	__hip_cuid_1e3595c6c21eeaf5, 1

	.ident	"AMD clang version 19.0.0git (https://github.com/RadeonOpenCompute/llvm-project roc-6.4.0 25133 c7fe45cf4b819c5991fe208aaa96edf142730f1d)"
	.section	".note.GNU-stack","",@progbits
	.addrsig
	.addrsig_sym __hip_cuid_1e3595c6c21eeaf5
	.amdgpu_metadata
---
amdhsa.kernels:
  - .args:
      - .actual_access:  read_only
        .address_space:  global
        .offset:         0
        .size:           8
        .value_kind:     global_buffer
      - .offset:         8
        .size:           8
        .value_kind:     by_value
      - .actual_access:  read_only
        .address_space:  global
        .offset:         16
        .size:           8
        .value_kind:     global_buffer
      - .actual_access:  read_only
        .address_space:  global
        .offset:         24
        .size:           8
        .value_kind:     global_buffer
      - .offset:         32
        .size:           8
        .value_kind:     by_value
      - .actual_access:  read_only
        .address_space:  global
        .offset:         40
        .size:           8
        .value_kind:     global_buffer
      - .actual_access:  read_only
        .address_space:  global
        .offset:         48
        .size:           8
        .value_kind:     global_buffer
      - .offset:         56
        .size:           4
        .value_kind:     by_value
      - .actual_access:  read_only
        .address_space:  global
        .offset:         64
        .size:           8
        .value_kind:     global_buffer
      - .actual_access:  read_only
        .address_space:  global
        .offset:         72
        .size:           8
        .value_kind:     global_buffer
      - .address_space:  global
        .offset:         80
        .size:           8
        .value_kind:     global_buffer
    .group_segment_fixed_size: 0
    .kernarg_segment_align: 8
    .kernarg_segment_size: 88
    .language:       OpenCL C
    .language_version:
      - 2
      - 0
    .max_flat_workgroup_size: 128
    .name:           fft_rtc_back_len96_factors_6_16_wgs_128_tpt_16_dp_ip_CI_unitstride_sbrr_C2R_dirReg
    .private_segment_fixed_size: 0
    .sgpr_count:     26
    .sgpr_spill_count: 0
    .symbol:         fft_rtc_back_len96_factors_6_16_wgs_128_tpt_16_dp_ip_CI_unitstride_sbrr_C2R_dirReg.kd
    .uniform_work_group_size: 1
    .uses_dynamic_stack: false
    .vgpr_count:     124
    .vgpr_spill_count: 0
    .wavefront_size: 64
amdhsa.target:   amdgcn-amd-amdhsa--gfx906
amdhsa.version:
  - 1
  - 2
...

	.end_amdgpu_metadata
